;; amdgpu-corpus repo=ROCm/rocFFT kind=compiled arch=gfx906 opt=O3
	.text
	.amdgcn_target "amdgcn-amd-amdhsa--gfx906"
	.amdhsa_code_object_version 6
	.protected	bluestein_single_fwd_len132_dim1_sp_op_CI_CI ; -- Begin function bluestein_single_fwd_len132_dim1_sp_op_CI_CI
	.globl	bluestein_single_fwd_len132_dim1_sp_op_CI_CI
	.p2align	8
	.type	bluestein_single_fwd_len132_dim1_sp_op_CI_CI,@function
bluestein_single_fwd_len132_dim1_sp_op_CI_CI: ; @bluestein_single_fwd_len132_dim1_sp_op_CI_CI
; %bb.0:
	v_mul_u32_u24_e32 v1, 0xba3, v0
	s_load_dwordx4 s[0:3], s[4:5], 0x28
	v_lshrrev_b32_e32 v1, 16, v1
	v_mad_u64_u32 v[28:29], s[6:7], s6, 5, v[1:2]
	v_mov_b32_e32 v29, 0
	s_waitcnt lgkmcnt(0)
	v_cmp_gt_u64_e32 vcc, s[0:1], v[28:29]
	s_and_saveexec_b64 s[0:1], vcc
	s_cbranch_execz .LBB0_15
; %bb.1:
	s_mov_b32 s0, 0xcccccccd
	v_mul_hi_u32 v2, v28, s0
	v_mul_lo_u16_e32 v1, 22, v1
	s_load_dwordx2 s[12:13], s[4:5], 0x0
	s_load_dwordx2 s[14:15], s[4:5], 0x38
	v_sub_u16_e32 v39, v0, v1
	v_lshrrev_b32_e32 v0, 2, v2
	v_lshl_add_u32 v0, v0, 2, v0
	v_sub_u32_e32 v0, v28, v0
	v_mul_u32_u24_e32 v42, 0x84, v0
	v_cmp_gt_u16_e32 vcc, 12, v39
	v_lshlrev_b32_e32 v40, 3, v39
	v_lshlrev_b32_e32 v43, 3, v42
	v_or_b32_e32 v41, 48, v39
	s_and_saveexec_b64 s[6:7], vcc
	s_cbranch_execz .LBB0_3
; %bb.2:
	s_load_dwordx2 s[0:1], s[4:5], 0x18
	v_mov_b32_e32 v8, s3
	v_mov_b32_e32 v46, 0xc0
	v_or_b32_e32 v37, 0x60, v39
	s_waitcnt lgkmcnt(0)
	s_load_dwordx4 s[8:11], s[0:1], 0x0
	s_waitcnt lgkmcnt(0)
	v_mad_u64_u32 v[0:1], s[0:1], s10, v28, 0
	v_mad_u64_u32 v[2:3], s[0:1], s8, v39, 0
	s_mul_hi_u32 s3, s8, 0x60
	s_mul_i32 s10, s9, 0xc0
	v_mad_u64_u32 v[4:5], s[0:1], s11, v28, v[1:2]
	v_mad_u64_u32 v[5:6], s[0:1], s9, v39, v[3:4]
	v_mov_b32_e32 v1, v4
	v_mad_u64_u32 v[6:7], s[0:1], s8, v41, 0
	v_lshlrev_b64 v[0:1], 3, v[0:1]
	v_mov_b32_e32 v3, v5
	v_lshlrev_b64 v[2:3], 3, v[2:3]
	v_add_co_u32_e64 v44, s[0:1], s2, v0
	v_addc_co_u32_e64 v45, s[0:1], v8, v1, s[0:1]
	v_add_co_u32_e64 v0, s[0:1], v44, v2
	v_mov_b32_e32 v2, v7
	v_addc_co_u32_e64 v1, s[0:1], v45, v3, s[0:1]
	v_mad_u64_u32 v[2:3], s[0:1], s9, v41, v[2:3]
	s_mul_i32 s2, s9, 0x60
	s_add_i32 s2, s3, s2
	v_mov_b32_e32 v7, v2
	v_lshlrev_b64 v[2:3], 3, v[6:7]
	s_mul_i32 s3, s8, 0x60
	v_add_co_u32_e64 v2, s[0:1], v44, v2
	v_addc_co_u32_e64 v3, s[0:1], v45, v3, s[0:1]
	v_mov_b32_e32 v5, s2
	v_add_co_u32_e64 v4, s[0:1], s3, v0
	v_addc_co_u32_e64 v5, s[0:1], v1, v5, s[0:1]
	v_mov_b32_e32 v7, s2
	;; [unrolled: 3-line block ×3, first 2 shown]
	v_add_co_u32_e64 v16, s[0:1], s3, v6
	v_addc_co_u32_e64 v17, s[0:1], v7, v17, s[0:1]
	global_load_dwordx2 v[2:3], v[2:3], off
	s_nop 0
	global_load_dwordx2 v[8:9], v40, s[12:13]
	global_load_dwordx2 v[10:11], v40, s[12:13] offset:96
	global_load_dwordx2 v[12:13], v40, s[12:13] offset:192
	;; [unrolled: 1-line block ×3, first 2 shown]
	global_load_dwordx2 v[18:19], v[0:1], off
	global_load_dwordx2 v[20:21], v[4:5], off
	;; [unrolled: 1-line block ×4, first 2 shown]
	global_load_dwordx2 v[26:27], v40, s[12:13] offset:384
	global_load_dwordx2 v[29:30], v40, s[12:13] offset:480
	;; [unrolled: 1-line block ×4, first 2 shown]
	v_mad_u64_u32 v[0:1], s[0:1], s8, v46, v[16:17]
	v_mad_u64_u32 v[4:5], s[0:1], s8, v37, 0
	v_mov_b32_e32 v7, s2
	v_add_u32_e32 v1, s10, v1
	v_add_co_u32_e64 v6, s[0:1], s3, v0
	v_addc_co_u32_e64 v7, s[0:1], v1, v7, s[0:1]
	global_load_dwordx2 v[16:17], v[0:1], off
	global_load_dwordx2 v[35:36], v[6:7], off
	v_mad_u64_u32 v[0:1], s[0:1], s9, v37, v[5:6]
	v_mov_b32_e32 v38, s2
	v_add_co_u32_e64 v6, s[0:1], s3, v6
	v_mov_b32_e32 v5, v0
	v_addc_co_u32_e64 v7, s[0:1], v7, v38, s[0:1]
	v_lshlrev_b64 v[0:1], 3, v[4:5]
	v_mad_u64_u32 v[4:5], s[0:1], s8, v46, v[6:7]
	v_add_co_u32_e64 v0, s[0:1], v44, v0
	v_addc_co_u32_e64 v1, s[0:1], v45, v1, s[0:1]
	global_load_dwordx2 v[0:1], v[0:1], off
	v_add_u32_e32 v5, s10, v5
	global_load_dwordx2 v[37:38], v[6:7], off
	s_nop 0
	global_load_dwordx2 v[6:7], v40, s[12:13] offset:768
	global_load_dwordx2 v[44:45], v[4:5], off
	global_load_dwordx2 v[46:47], v40, s[12:13] offset:864
	v_mov_b32_e32 v48, s2
	v_add_co_u32_e64 v4, s[0:1], s3, v4
	v_addc_co_u32_e64 v5, s[0:1], v5, v48, s[0:1]
	global_load_dwordx2 v[48:49], v[4:5], off
	global_load_dwordx2 v[50:51], v40, s[12:13] offset:960
	s_waitcnt vmcnt(16)
	v_mul_f32_e32 v4, v19, v9
	v_mul_f32_e32 v5, v18, v9
	v_fmac_f32_e32 v4, v18, v8
	v_fma_f32 v5, v19, v8, -v5
	s_waitcnt vmcnt(12)
	v_mul_f32_e32 v8, v2, v27
	v_fma_f32 v9, v3, v26, -v8
	v_mul_f32_e32 v8, v3, v27
	v_fmac_f32_e32 v8, v2, v26
	v_mul_f32_e32 v2, v20, v11
	v_fma_f32 v3, v21, v10, -v2
	v_mul_f32_e32 v2, v21, v11
	v_fmac_f32_e32 v2, v20, v10
	v_mul_f32_e32 v10, v22, v13
	v_lshl_add_u32 v18, v39, 3, v43
	v_fma_f32 v11, v23, v12, -v10
	v_mul_f32_e32 v10, v23, v13
	v_add_u32_e32 v19, v43, v40
	v_fmac_f32_e32 v10, v22, v12
	ds_write_b64 v18, v[4:5]
	ds_write2_b64 v19, v[2:3], v[10:11] offset0:12 offset1:24
	v_mul_f32_e32 v2, v24, v15
	v_fma_f32 v3, v25, v14, -v2
	v_mul_f32_e32 v2, v25, v15
	v_fmac_f32_e32 v2, v24, v14
	ds_write2_b64 v19, v[2:3], v[8:9] offset0:36 offset1:48
	s_waitcnt vmcnt(8)
	v_mul_f32_e32 v2, v17, v30
	v_mul_f32_e32 v3, v16, v30
	s_waitcnt vmcnt(7)
	v_mul_f32_e32 v4, v36, v32
	v_mul_f32_e32 v5, v35, v32
	v_fmac_f32_e32 v2, v16, v29
	v_fma_f32 v3, v17, v29, -v3
	v_fmac_f32_e32 v4, v35, v31
	v_fma_f32 v5, v36, v31, -v5
	ds_write2_b64 v19, v[2:3], v[4:5] offset0:60 offset1:72
	s_waitcnt vmcnt(4)
	v_mul_f32_e32 v4, v1, v7
	v_mul_f32_e32 v2, v38, v34
	;; [unrolled: 1-line block ×3, first 2 shown]
	v_fmac_f32_e32 v4, v0, v6
	v_mul_f32_e32 v0, v0, v7
	v_fmac_f32_e32 v2, v37, v33
	v_fma_f32 v3, v38, v33, -v3
	v_fma_f32 v5, v1, v6, -v0
	ds_write2_b64 v19, v[2:3], v[4:5] offset0:84 offset1:96
	s_waitcnt vmcnt(2)
	v_mul_f32_e32 v0, v45, v47
	v_mul_f32_e32 v1, v44, v47
	s_waitcnt vmcnt(0)
	v_mul_f32_e32 v2, v49, v51
	v_mul_f32_e32 v3, v48, v51
	v_fmac_f32_e32 v0, v44, v46
	v_fma_f32 v1, v45, v46, -v1
	v_fmac_f32_e32 v2, v48, v50
	v_fma_f32 v3, v49, v50, -v3
	ds_write2_b64 v19, v[0:1], v[2:3] offset0:108 offset1:120
.LBB0_3:
	s_or_b64 exec, exec, s[6:7]
	s_load_dwordx2 s[0:1], s[4:5], 0x20
	s_load_dwordx2 s[2:3], s[4:5], 0x8
	v_mov_b32_e32 v8, 0
	v_mov_b32_e32 v9, 0
	s_waitcnt lgkmcnt(0)
	s_barrier
	s_waitcnt lgkmcnt(0)
                                        ; implicit-def: $vgpr12
                                        ; implicit-def: $vgpr24
                                        ; implicit-def: $vgpr31
                                        ; implicit-def: $vgpr22
                                        ; implicit-def: $vgpr18
	s_and_saveexec_b64 s[4:5], vcc
	s_cbranch_execz .LBB0_5
; %bb.4:
	v_lshl_add_u32 v0, v42, 3, v40
	ds_read2_b64 v[8:11], v0 offset1:12
	ds_read2_b64 v[16:19], v0 offset0:24 offset1:36
	ds_read2_b64 v[20:23], v0 offset0:48 offset1:60
	;; [unrolled: 1-line block ×4, first 2 shown]
	ds_read_b64 v[31:32], v0 offset:960
.LBB0_5:
	s_or_b64 exec, exec, s[4:5]
	s_waitcnt lgkmcnt(0)
	v_sub_f32_e32 v4, v11, v32
	v_mul_f32_e32 v33, 0xbf0a6770, v4
	v_sub_f32_e32 v44, v17, v27
	v_add_f32_e32 v48, v31, v10
	v_sub_f32_e32 v5, v10, v31
	v_mov_b32_e32 v0, v33
	v_mul_f32_e32 v35, 0xbf68dda4, v44
	v_add_f32_e32 v49, v32, v11
	s_mov_b32 s4, 0x3f575c64
	v_mul_f32_e32 v34, 0xbf0a6770, v5
	v_fmac_f32_e32 v0, 0x3f575c64, v48
	v_add_f32_e32 v52, v26, v16
	v_mov_b32_e32 v2, v35
	v_sub_f32_e32 v94, v16, v26
	v_add_f32_e32 v0, v0, v8
	v_fma_f32 v1, v49, s4, -v34
	s_mov_b32 s5, 0x3ed4b147
	v_add_f32_e32 v53, v27, v17
	v_fmac_f32_e32 v2, 0x3ed4b147, v52
	v_mul_f32_e32 v36, 0xbf68dda4, v94
	v_sub_f32_e32 v89, v19, v25
	v_add_f32_e32 v1, v1, v9
	v_add_f32_e32 v0, v2, v0
	v_fma_f32 v2, v53, s5, -v36
	v_mul_f32_e32 v37, 0xbf7d64f0, v89
	v_add_f32_e32 v1, v2, v1
	v_add_f32_e32 v55, v24, v18
	v_mov_b32_e32 v2, v37
	v_sub_f32_e32 v95, v18, v24
	v_fmac_f32_e32 v2, 0xbe11bafb, v55
	s_mov_b32 s6, 0xbe11bafb
	v_add_f32_e32 v59, v25, v19
	v_mul_f32_e32 v38, 0xbf7d64f0, v95
	v_sub_f32_e32 v90, v21, v15
	v_add_f32_e32 v0, v2, v0
	v_fma_f32 v2, v59, s6, -v38
	v_mul_f32_e32 v45, 0xbf4178ce, v90
	v_add_f32_e32 v1, v2, v1
	v_add_f32_e32 v58, v14, v20
	v_mov_b32_e32 v2, v45
	v_sub_f32_e32 v99, v20, v14
	v_fmac_f32_e32 v2, 0xbf27a4f4, v58
	s_mov_b32 s7, 0xbf27a4f4
	v_add_f32_e32 v64, v15, v21
	v_mul_f32_e32 v46, 0xbf4178ce, v99
	v_sub_f32_e32 v91, v23, v13
	v_add_f32_e32 v0, v2, v0
	v_fma_f32 v2, v64, s7, -v46
	v_mul_f32_e32 v47, 0xbe903f40, v91
	v_add_f32_e32 v1, v2, v1
	v_add_f32_e32 v67, v12, v22
	v_mov_b32_e32 v2, v47
	v_sub_f32_e32 v100, v22, v12
	s_mov_b32 s8, 0xbf75a155
	v_fmac_f32_e32 v2, 0xbf75a155, v67
	v_add_f32_e32 v68, v13, v23
	v_mul_f32_e32 v50, 0xbe903f40, v100
	v_add_f32_e32 v29, v2, v0
	v_fma_f32 v0, v68, s8, -v50
	v_mul_f32_e32 v51, 0xbf68dda4, v4
	v_add_f32_e32 v30, v0, v1
	v_mov_b32_e32 v0, v51
	v_mul_f32_e32 v54, 0xbf4178ce, v44
	v_fmac_f32_e32 v0, 0x3ed4b147, v48
	v_mov_b32_e32 v1, v54
	v_add_f32_e32 v0, v0, v8
	v_fmac_f32_e32 v1, 0xbf27a4f4, v52
	v_mul_f32_e32 v60, 0xbf68dda4, v5
	v_add_f32_e32 v0, v1, v0
	v_fma_f32 v1, v49, s5, -v60
	v_mul_f32_e32 v61, 0xbf4178ce, v94
	v_add_f32_e32 v1, v1, v9
	v_fma_f32 v2, v53, s7, -v61
	v_mul_f32_e32 v56, 0x3e903f40, v89
	v_add_f32_e32 v1, v2, v1
	v_mov_b32_e32 v2, v56
	v_fmac_f32_e32 v2, 0xbf75a155, v55
	v_mul_f32_e32 v63, 0x3e903f40, v95
	v_add_f32_e32 v0, v2, v0
	v_fma_f32 v2, v59, s8, -v63
	v_mul_f32_e32 v57, 0x3f7d64f0, v90
	v_add_f32_e32 v1, v2, v1
	v_mov_b32_e32 v2, v57
	v_fmac_f32_e32 v2, 0xbe11bafb, v58
	;; [unrolled: 7-line block ×3, first 2 shown]
	v_mul_f32_e32 v66, 0x3f0a6770, v100
	v_mul_f32_e32 v69, 0xbf7d64f0, v4
	v_fma_f32 v3, v68, s4, -v66
	v_add_f32_e32 v2, v2, v0
	v_mov_b32_e32 v0, v69
	v_mul_f32_e32 v70, 0x3e903f40, v44
	v_add_f32_e32 v3, v3, v1
	v_fmac_f32_e32 v0, 0xbe11bafb, v48
	v_mov_b32_e32 v1, v70
	v_add_f32_e32 v0, v0, v8
	v_fmac_f32_e32 v1, 0xbf75a155, v52
	v_mul_f32_e32 v71, 0x3f68dda4, v89
	v_add_f32_e32 v0, v1, v0
	v_mov_b32_e32 v1, v71
	v_fmac_f32_e32 v1, 0x3ed4b147, v55
	v_mul_f32_e32 v72, 0xbf0a6770, v90
	v_add_f32_e32 v0, v1, v0
	v_mov_b32_e32 v1, v72
	;; [unrolled: 4-line block ×3, first 2 shown]
	v_fmac_f32_e32 v1, 0xbf27a4f4, v67
	v_mul_f32_e32 v74, 0xbf7d64f0, v5
	v_add_f32_e32 v0, v1, v0
	v_fma_f32 v1, v49, s6, -v74
	v_mul_f32_e32 v75, 0x3e903f40, v94
	v_add_f32_e32 v1, v1, v9
	v_fma_f32 v6, v53, s8, -v75
	;; [unrolled: 3-line block ×5, first 2 shown]
	v_mul_f32_e32 v79, 0xbf4178ce, v4
	v_add_f32_e32 v1, v6, v1
	v_mov_b32_e32 v6, v79
	v_mul_f32_e32 v80, 0x3f7d64f0, v44
	v_fmac_f32_e32 v6, 0xbf27a4f4, v48
	v_mov_b32_e32 v7, v80
	v_add_f32_e32 v6, v6, v8
	v_fmac_f32_e32 v7, 0xbe11bafb, v52
	v_mul_f32_e32 v83, 0xbf4178ce, v5
	v_add_f32_e32 v6, v7, v6
	v_fma_f32 v7, v49, s7, -v83
	v_mul_f32_e32 v84, 0x3f7d64f0, v94
	v_add_f32_e32 v7, v7, v9
	v_fma_f32 v81, v53, s6, -v84
	v_add_f32_e32 v7, v81, v7
	v_mul_f32_e32 v81, 0xbf0a6770, v89
	v_mov_b32_e32 v82, v81
	v_fmac_f32_e32 v82, 0x3f575c64, v55
	v_mul_f32_e32 v86, 0xbf0a6770, v95
	v_add_f32_e32 v6, v82, v6
	v_fma_f32 v82, v59, s4, -v86
	v_add_f32_e32 v7, v82, v7
	v_mul_f32_e32 v82, 0xbe903f40, v90
	v_mov_b32_e32 v85, v82
	v_fmac_f32_e32 v85, 0xbf75a155, v58
	;; [unrolled: 7-line block ×3, first 2 shown]
	v_mul_f32_e32 v88, 0x3f68dda4, v100
	v_fma_f32 v93, v68, s5, -v88
	v_add_f32_e32 v6, v92, v6
	v_mul_f32_e32 v92, 0xbe903f40, v4
	v_add_f32_e32 v7, v93, v7
	v_mov_b32_e32 v4, v92
	v_mul_f32_e32 v93, 0x3f0a6770, v44
	v_fmac_f32_e32 v4, 0xbf75a155, v48
	v_mov_b32_e32 v44, v93
	v_add_f32_e32 v4, v4, v8
	v_fmac_f32_e32 v44, 0x3f575c64, v52
	v_mul_f32_e32 v89, 0xbf4178ce, v89
	v_add_f32_e32 v4, v44, v4
	v_mov_b32_e32 v44, v89
	v_fmac_f32_e32 v44, 0xbf27a4f4, v55
	v_mul_f32_e32 v90, 0x3f68dda4, v90
	v_add_f32_e32 v4, v44, v4
	v_mov_b32_e32 v44, v90
	;; [unrolled: 4-line block ×3, first 2 shown]
	v_mul_f32_e32 v98, 0xbe903f40, v5
	v_fmac_f32_e32 v44, 0xbe11bafb, v67
	v_fma_f32 v5, v49, s8, -v98
	v_mul_f32_e32 v97, 0x3f0a6770, v94
	v_add_f32_e32 v4, v44, v4
	v_add_f32_e32 v5, v5, v9
	v_fma_f32 v44, v53, s4, -v97
	v_mul_f32_e32 v96, 0xbf4178ce, v95
	v_add_f32_e32 v5, v44, v5
	v_fma_f32 v44, v59, s7, -v96
	v_mul_f32_e32 v95, 0x3f68dda4, v99
	;; [unrolled: 3-line block ×3, first 2 shown]
	v_add_f32_e32 v5, v44, v5
	v_fma_f32 v44, v68, s6, -v94
	v_add_f32_e32 v5, v44, v5
	v_mul_lo_u16_e32 v44, 11, v39
	s_barrier
	s_and_saveexec_b64 s[4:5], vcc
	s_cbranch_execz .LBB0_7
; %bb.6:
	v_mul_f32_e32 v100, 0x3f575c64, v49
	v_mul_f32_e32 v102, 0x3ed4b147, v49
	;; [unrolled: 1-line block ×10, first 2 shown]
	v_add_f32_e32 v49, v98, v49
	v_mul_f32_e32 v116, 0xbe11bafb, v59
	v_mul_f32_e32 v118, 0xbf75a155, v59
	;; [unrolled: 1-line block ×5, first 2 shown]
	v_add_f32_e32 v53, v97, v53
	v_add_f32_e32 v49, v49, v9
	;; [unrolled: 1-line block ×4, first 2 shown]
	v_mul_f32_e32 v99, 0x3f575c64, v48
	v_mul_f32_e32 v101, 0x3ed4b147, v48
	;; [unrolled: 1-line block ×5, first 2 shown]
	v_add_f32_e32 v49, v53, v49
	v_mul_f32_e32 v53, 0x3ed4b147, v64
	v_mul_f32_e32 v107, 0x3ed4b147, v52
	;; [unrolled: 1-line block ×6, first 2 shown]
	v_add_f32_e32 v53, v95, v53
	v_sub_f32_e32 v48, v48, v92
	v_mul_f32_e32 v115, 0xbe11bafb, v55
	v_mul_f32_e32 v117, 0xbf75a155, v55
	;; [unrolled: 1-line block ×5, first 2 shown]
	v_add_f32_e32 v49, v53, v49
	v_mul_f32_e32 v53, 0xbe11bafb, v68
	v_sub_f32_e32 v52, v52, v93
	v_add_f32_e32 v48, v48, v8
	v_mul_f32_e32 v97, 0xbf27a4f4, v58
	v_mul_f32_e32 v96, 0xbe11bafb, v58
	v_add_f32_e32 v53, v94, v53
	v_mul_f32_e32 v94, 0x3f575c64, v58
	v_mul_f32_e32 v92, 0xbf75a155, v58
	;; [unrolled: 1-line block ×3, first 2 shown]
	v_add_f32_e32 v48, v52, v48
	v_sub_f32_e32 v52, v55, v89
	v_add_f32_e32 v48, v52, v48
	v_sub_f32_e32 v52, v58, v90
	v_add_f32_e32 v48, v52, v48
	v_mul_f32_e32 v52, 0xbe11bafb, v67
	v_sub_f32_e32 v52, v52, v91
	v_mul_f32_e32 v93, 0xbf75a155, v67
	v_mul_f32_e32 v123, 0x3f575c64, v67
	;; [unrolled: 1-line block ×3, first 2 shown]
	v_add_f32_e32 v48, v52, v48
	v_mul_f32_e32 v52, 0x3ed4b147, v67
	v_add_f32_e32 v67, v83, v106
	v_mul_f32_e32 v89, 0xbf75a155, v68
	v_mul_f32_e32 v55, 0x3f575c64, v68
	v_add_f32_e32 v49, v53, v49
	v_mul_f32_e32 v90, 0xbf27a4f4, v68
	v_mul_f32_e32 v53, 0x3ed4b147, v68
	v_add_f32_e32 v67, v67, v9
	v_add_f32_e32 v68, v84, v114
	v_mul_f32_e32 v122, 0xbf27a4f4, v64
	v_mul_f32_e32 v95, 0xbe11bafb, v64
	;; [unrolled: 1-line block ×4, first 2 shown]
	v_add_f32_e32 v67, v68, v67
	v_add_f32_e32 v68, v86, v98
	v_add_f32_e32 v67, v68, v67
	v_add_f32_e32 v64, v87, v64
	v_add_f32_e32 v64, v64, v67
	v_add_f32_e32 v53, v88, v53
	v_add_f32_e32 v53, v53, v64
	v_sub_f32_e32 v64, v105, v79
	v_add_f32_e32 v64, v64, v8
	v_sub_f32_e32 v67, v113, v80
	v_add_f32_e32 v64, v67, v64
	;; [unrolled: 2-line block ×5, first 2 shown]
	v_add_f32_e32 v64, v74, v104
	v_add_f32_e32 v64, v64, v9
	;; [unrolled: 1-line block ×10, first 2 shown]
	v_sub_f32_e32 v64, v103, v69
	v_add_f32_e32 v60, v60, v102
	v_sub_f32_e32 v51, v101, v51
	v_add_f32_e32 v34, v34, v100
	;; [unrolled: 2-line block ×3, first 2 shown]
	v_add_f32_e32 v60, v60, v9
	v_add_f32_e32 v51, v51, v8
	;; [unrolled: 1-line block ×15, first 2 shown]
	v_sub_f32_e32 v35, v107, v35
	v_add_f32_e32 v9, v13, v9
	v_add_f32_e32 v8, v12, v8
	v_sub_f32_e32 v67, v111, v70
	v_add_f32_e32 v61, v61, v110
	v_sub_f32_e32 v54, v109, v54
	v_add_f32_e32 v34, v36, v34
	v_add_f32_e32 v36, v38, v116
	v_add_f32_e32 v33, v35, v33
	v_sub_f32_e32 v35, v115, v37
	v_add_f32_e32 v9, v15, v9
	v_add_f32_e32 v8, v14, v8
	;; [unrolled: 4-line block ×10, first 2 shown]
	v_add_f32_e32 v9, v32, v9
	v_add_f32_e32 v8, v31, v8
	v_add_lshl_u32 v10, v42, v44, 3
	v_add_f32_e32 v58, v58, v64
	v_add_f32_e32 v55, v55, v60
	;; [unrolled: 1-line block ×3, first 2 shown]
	ds_write2_b64 v10, v[8:9], v[33:34] offset1:1
	ds_write2_b64 v10, v[54:55], v[58:59] offset0:2 offset1:3
	ds_write2_b64 v10, v[52:53], v[48:49] offset0:4 offset1:5
	;; [unrolled: 1-line block ×4, first 2 shown]
	ds_write_b64 v10, v[29:30] offset:80
.LBB0_7:
	s_or_b64 exec, exec, s[4:5]
	s_load_dwordx4 s[4:7], s[0:1], 0x0
	v_add_u32_e32 v8, -11, v39
	v_cmp_gt_u16_e64 s[0:1], 11, v39
	v_cndmask_b32_e64 v33, v8, v39, s[0:1]
	v_mul_i32_i24_e32 v9, 40, v33
	v_mul_hi_i32_i24_e32 v8, 40, v33
	v_mov_b32_e32 v10, s3
	v_add_co_u32_e64 v16, s[0:1], s2, v9
	v_addc_co_u32_e64 v17, s[0:1], v10, v8, s[0:1]
	s_waitcnt lgkmcnt(0)
	s_barrier
	global_load_dwordx4 v[12:15], v[16:17], off
	global_load_dwordx4 v[8:11], v[16:17], off offset:16
	global_load_dwordx2 v[31:32], v[16:17], off offset:32
	v_add_lshl_u32 v45, v42, v39, 3
	ds_read2_b64 v[16:19], v45 offset1:22
	ds_read2_b64 v[20:23], v45 offset0:44 offset1:66
	ds_read2_b64 v[24:27], v45 offset0:88 offset1:110
	v_cmp_lt_u16_e64 s[0:1], 10, v39
	s_waitcnt vmcnt(0) lgkmcnt(0)
	s_barrier
	v_mul_f32_e32 v34, v19, v13
	v_mul_f32_e32 v35, v18, v13
	v_mul_f32_e32 v36, v21, v15
	v_mul_f32_e32 v37, v20, v15
	v_mul_f32_e32 v46, v22, v9
	v_mul_f32_e32 v47, v25, v11
	v_mul_f32_e32 v48, v24, v11
	v_mul_f32_e32 v50, v26, v32
	v_mul_f32_e32 v38, v23, v9
	v_mul_f32_e32 v49, v27, v32
	v_fma_f32 v34, v18, v12, -v34
	v_fmac_f32_e32 v35, v19, v12
	v_fma_f32 v18, v20, v14, -v36
	v_fmac_f32_e32 v37, v21, v14
	v_fmac_f32_e32 v46, v23, v8
	v_fma_f32 v20, v24, v10, -v47
	v_fmac_f32_e32 v48, v25, v10
	v_fmac_f32_e32 v50, v27, v31
	v_fma_f32 v19, v22, v8, -v38
	v_fma_f32 v21, v26, v31, -v49
	v_add_f32_e32 v22, v16, v18
	v_add_f32_e32 v23, v18, v20
	v_sub_f32_e32 v24, v37, v48
	v_add_f32_e32 v25, v17, v37
	v_add_f32_e32 v26, v37, v48
	v_sub_f32_e32 v37, v46, v50
	;; [unrolled: 3-line block ×4, first 2 shown]
	v_add_f32_e32 v19, v22, v20
	v_fma_f32 v22, -0.5, v23, v16
	v_fma_f32 v23, -0.5, v26, v17
	v_fmac_f32_e32 v35, -0.5, v46
	v_add_f32_e32 v18, v18, v21
	v_fmac_f32_e32 v34, -0.5, v36
	v_add_f32_e32 v21, v38, v50
	v_mov_b32_e32 v36, v23
	v_mov_b32_e32 v38, v35
	v_fmac_f32_e32 v35, 0x3f5db3d7, v47
	v_add_f32_e32 v20, v25, v48
	v_mov_b32_e32 v26, v22
	v_fmac_f32_e32 v23, 0x3f5db3d7, v27
	v_mov_b32_e32 v25, v34
	v_fmac_f32_e32 v34, 0xbf5db3d7, v37
	v_fmac_f32_e32 v36, 0xbf5db3d7, v27
	v_mul_f32_e32 v27, -0.5, v35
	v_fmac_f32_e32 v22, 0xbf5db3d7, v24
	v_fmac_f32_e32 v26, 0x3f5db3d7, v24
	;; [unrolled: 1-line block ×4, first 2 shown]
	v_mul_f32_e32 v24, -0.5, v34
	v_fmac_f32_e32 v27, 0xbf5db3d7, v34
	v_mov_b32_e32 v34, 0x42
	v_mul_f32_e32 v37, 0x3f5db3d7, v38
	v_fmac_f32_e32 v24, 0x3f5db3d7, v35
	v_mul_f32_e32 v35, 0xbf5db3d7, v25
	v_cndmask_b32_e64 v34, 0, v34, s[0:1]
	v_fmac_f32_e32 v37, 0.5, v25
	v_fmac_f32_e32 v35, 0.5, v38
	v_add_u32_e32 v33, v33, v34
	v_add_f32_e32 v16, v19, v18
	v_add_f32_e32 v17, v20, v21
	v_sub_f32_e32 v18, v19, v18
	v_sub_f32_e32 v19, v20, v21
	v_add_f32_e32 v20, v22, v24
	v_sub_f32_e32 v22, v22, v24
	v_add_f32_e32 v24, v26, v37
	v_add_f32_e32 v25, v36, v35
	v_add_lshl_u32 v47, v42, v33, 3
	v_add_f32_e32 v21, v23, v27
	v_sub_f32_e32 v23, v23, v27
	v_sub_f32_e32 v26, v26, v37
	;; [unrolled: 1-line block ×3, first 2 shown]
	ds_write2_b64 v47, v[16:17], v[24:25] offset1:11
	ds_write2_b64 v47, v[20:21], v[18:19] offset0:22 offset1:33
	ds_write2_b64 v47, v[26:27], v[22:23] offset0:44 offset1:55
	s_waitcnt lgkmcnt(0)
	s_barrier
	global_load_dwordx2 v[33:34], v40, s[2:3] offset:440
	global_load_dwordx2 v[35:36], v40, s[2:3] offset:616
	;; [unrolled: 1-line block ×3, first 2 shown]
	ds_read2_b64 v[24:27], v45 offset0:44 offset1:66
	ds_read2_b64 v[16:19], v45 offset0:88 offset1:110
	ds_read2_b64 v[49:52], v45 offset1:22
	v_lshl_add_u32 v46, v39, 3, v43
	v_add_u32_e32 v48, v40, v43
	s_waitcnt vmcnt(2) lgkmcnt(2)
	v_mul_f32_e32 v20, v27, v34
	v_mul_f32_e32 v21, v26, v34
	s_waitcnt vmcnt(1) lgkmcnt(1)
	v_mul_f32_e32 v22, v17, v36
	v_mul_f32_e32 v23, v16, v36
	s_waitcnt vmcnt(0)
	v_mul_f32_e32 v53, v19, v38
	v_mul_f32_e32 v54, v18, v38
	v_fma_f32 v20, v26, v33, -v20
	v_fmac_f32_e32 v21, v27, v33
	v_fma_f32 v16, v16, v35, -v22
	v_fmac_f32_e32 v23, v17, v35
	;; [unrolled: 2-line block ×3, first 2 shown]
	s_waitcnt lgkmcnt(0)
	v_sub_f32_e32 v18, v49, v20
	v_sub_f32_e32 v19, v50, v21
	;; [unrolled: 1-line block ×6, first 2 shown]
	v_fma_f32 v16, v49, 2.0, -v18
	v_fma_f32 v17, v50, 2.0, -v19
	;; [unrolled: 1-line block ×6, first 2 shown]
	ds_write_b64 v46, v[22:23] offset:704
	ds_write2_b64 v46, v[16:17], v[20:21] offset1:22
	ds_write2_b64 v46, v[24:25], v[18:19] offset0:44 offset1:66
	ds_write_b64 v48, v[26:27] offset:880
	s_waitcnt lgkmcnt(0)
	s_barrier
	s_and_saveexec_b64 s[0:1], vcc
	s_cbranch_execz .LBB0_9
; %bb.8:
	global_load_dwordx2 v[69:70], v40, s[12:13] offset:1056
	s_add_u32 s2, s12, 0x420
	s_addc_u32 s3, s13, 0
	global_load_dwordx2 v[71:72], v40, s[2:3] offset:96
	global_load_dwordx2 v[73:74], v40, s[2:3] offset:192
	;; [unrolled: 1-line block ×10, first 2 shown]
	ds_read2_b64 v[49:52], v46 offset1:12
	ds_read2_b64 v[53:56], v46 offset0:24 offset1:36
	ds_read2_b64 v[57:60], v46 offset0:48 offset1:60
	;; [unrolled: 1-line block ×4, first 2 shown]
	ds_read_b64 v[91:92], v46 offset:960
	s_waitcnt vmcnt(7) lgkmcnt(4)
	v_mul_f32_e32 v95, v56, v76
	s_waitcnt vmcnt(6) lgkmcnt(3)
	v_mul_f32_e32 v96, v58, v78
	s_waitcnt vmcnt(5)
	v_mul_f32_e32 v97, v60, v80
	s_waitcnt vmcnt(4) lgkmcnt(2)
	v_mul_f32_e32 v98, v62, v82
	v_mul_f32_e32 v93, v50, v70
	;; [unrolled: 1-line block ×3, first 2 shown]
	v_fma_f32 v93, v49, v69, -v93
	v_fmac_f32_e32 v94, v50, v69
	v_mul_f32_e32 v49, v52, v72
	v_mul_f32_e32 v50, v51, v72
	;; [unrolled: 1-line block ×8, first 2 shown]
	s_waitcnt vmcnt(3)
	v_mul_f32_e32 v99, v64, v84
	v_mul_f32_e32 v80, v63, v84
	s_waitcnt vmcnt(2) lgkmcnt(1)
	v_mul_f32_e32 v100, v66, v86
	v_mul_f32_e32 v82, v65, v86
	s_waitcnt vmcnt(1)
	v_mul_f32_e32 v101, v68, v88
	v_mul_f32_e32 v84, v67, v88
	s_waitcnt vmcnt(0) lgkmcnt(0)
	v_mul_f32_e32 v88, v92, v90
	v_mul_f32_e32 v86, v91, v90
	v_fma_f32 v49, v51, v71, -v49
	v_fmac_f32_e32 v50, v52, v71
	v_fma_f32 v69, v53, v73, -v69
	v_fmac_f32_e32 v70, v54, v73
	;; [unrolled: 2-line block ×10, first 2 shown]
	ds_write2_b64 v46, v[93:94], v[49:50] offset1:12
	ds_write2_b64 v46, v[69:70], v[71:72] offset0:24 offset1:36
	ds_write2_b64 v46, v[73:74], v[75:76] offset0:48 offset1:60
	;; [unrolled: 1-line block ×4, first 2 shown]
	ds_write_b64 v46, v[85:86] offset:960
.LBB0_9:
	s_or_b64 exec, exec, s[0:1]
	s_waitcnt lgkmcnt(0)
	s_barrier
	s_and_saveexec_b64 s[0:1], vcc
	s_cbranch_execz .LBB0_11
; %bb.10:
	ds_read2_b64 v[16:19], v46 offset1:12
	ds_read2_b64 v[20:23], v46 offset0:24 offset1:36
	ds_read2_b64 v[24:27], v46 offset0:48 offset1:60
	;; [unrolled: 1-line block ×4, first 2 shown]
	ds_read_b64 v[29:30], v46 offset:960
.LBB0_11:
	s_or_b64 exec, exec, s[0:1]
	v_add_u32_e32 v48, 0x160, v48
	s_waitcnt lgkmcnt(0)
	s_barrier
	s_and_saveexec_b64 s[0:1], vcc
	s_cbranch_execz .LBB0_13
; %bb.12:
	v_add_f32_e32 v57, v30, v19
	v_mul_f32_e32 v59, 0xbf75a155, v57
	v_add_f32_e32 v58, v3, v21
	v_sub_f32_e32 v60, v18, v29
	v_mov_b32_e32 v49, v59
	v_mul_f32_e32 v61, 0x3f575c64, v58
	v_fmac_f32_e32 v49, 0x3e903f40, v60
	v_sub_f32_e32 v62, v20, v2
	v_mov_b32_e32 v50, v61
	v_add_f32_e32 v63, v1, v23
	v_add_f32_e32 v49, v17, v49
	v_fmac_f32_e32 v50, 0xbf0a6770, v62
	v_mul_f32_e32 v64, 0xbf27a4f4, v63
	v_add_f32_e32 v49, v50, v49
	v_sub_f32_e32 v65, v22, v0
	v_mov_b32_e32 v50, v64
	v_add_f32_e32 v66, v7, v25
	v_fmac_f32_e32 v50, 0x3f4178ce, v65
	v_mul_f32_e32 v67, 0x3ed4b147, v66
	v_add_f32_e32 v49, v50, v49
	v_sub_f32_e32 v68, v24, v6
	v_mov_b32_e32 v50, v67
	;; [unrolled: 6-line block ×3, first 2 shown]
	v_sub_f32_e32 v73, v19, v30
	v_fmac_f32_e32 v50, 0x3f7d64f0, v71
	v_mul_f32_e32 v74, 0xbe903f40, v73
	v_sub_f32_e32 v76, v21, v3
	v_add_f32_e32 v50, v50, v49
	v_add_f32_e32 v72, v29, v18
	v_mov_b32_e32 v49, v74
	v_mul_f32_e32 v77, 0x3f0a6770, v76
	v_fmac_f32_e32 v49, 0xbf75a155, v72
	v_add_f32_e32 v75, v2, v20
	v_mov_b32_e32 v51, v77
	v_sub_f32_e32 v79, v23, v1
	v_add_f32_e32 v49, v16, v49
	v_fmac_f32_e32 v51, 0x3f575c64, v75
	v_mul_f32_e32 v80, 0xbf4178ce, v79
	v_add_f32_e32 v49, v51, v49
	v_add_f32_e32 v78, v0, v22
	v_mov_b32_e32 v51, v80
	v_sub_f32_e32 v82, v25, v7
	v_fmac_f32_e32 v51, 0xbf27a4f4, v78
	v_mul_f32_e32 v83, 0x3f68dda4, v82
	v_add_f32_e32 v49, v51, v49
	v_add_f32_e32 v81, v6, v24
	v_mov_b32_e32 v51, v83
	v_sub_f32_e32 v85, v27, v5
	v_fmac_f32_e32 v51, 0x3ed4b147, v81
	v_mul_f32_e32 v86, 0xbf7d64f0, v85
	v_add_f32_e32 v49, v51, v49
	v_add_f32_e32 v84, v4, v26
	v_mov_b32_e32 v51, v86
	v_fmac_f32_e32 v51, 0xbe11bafb, v84
	v_mul_f32_e32 v87, 0xbf27a4f4, v57
	v_add_f32_e32 v49, v51, v49
	v_mov_b32_e32 v51, v87
	v_mul_f32_e32 v88, 0xbe11bafb, v58
	v_fmac_f32_e32 v51, 0x3f4178ce, v60
	v_mov_b32_e32 v52, v88
	v_add_f32_e32 v51, v17, v51
	v_fmac_f32_e32 v52, 0xbf7d64f0, v62
	v_mul_f32_e32 v89, 0x3f575c64, v63
	v_add_f32_e32 v51, v52, v51
	v_mov_b32_e32 v52, v89
	v_fmac_f32_e32 v52, 0x3f0a6770, v65
	v_mul_f32_e32 v90, 0xbf75a155, v66
	v_add_f32_e32 v51, v52, v51
	v_mov_b32_e32 v52, v90
	;; [unrolled: 4-line block ×4, first 2 shown]
	v_mul_f32_e32 v93, 0x3f7d64f0, v76
	v_fmac_f32_e32 v51, 0xbf27a4f4, v72
	v_mov_b32_e32 v53, v93
	v_add_f32_e32 v51, v16, v51
	v_fmac_f32_e32 v53, 0xbe11bafb, v75
	v_mul_f32_e32 v94, 0xbf0a6770, v79
	v_add_f32_e32 v51, v53, v51
	v_mov_b32_e32 v53, v94
	v_fmac_f32_e32 v53, 0x3f575c64, v78
	v_mul_f32_e32 v95, 0xbe903f40, v82
	v_add_f32_e32 v51, v53, v51
	v_mov_b32_e32 v53, v95
	;; [unrolled: 4-line block ×4, first 2 shown]
	v_mul_f32_e32 v98, 0xbf75a155, v58
	v_fmac_f32_e32 v53, 0x3f7d64f0, v60
	v_mov_b32_e32 v54, v98
	v_add_f32_e32 v19, v19, v17
	v_add_f32_e32 v53, v17, v53
	v_fmac_f32_e32 v54, 0xbe903f40, v62
	v_mul_f32_e32 v99, 0x3ed4b147, v63
	v_add_f32_e32 v19, v21, v19
	v_add_f32_e32 v53, v54, v53
	v_mov_b32_e32 v54, v99
	v_add_f32_e32 v19, v23, v19
	v_fmac_f32_e32 v54, 0xbf68dda4, v65
	v_mul_f32_e32 v100, 0x3f575c64, v66
	v_add_f32_e32 v19, v25, v19
	v_add_f32_e32 v53, v54, v53
	v_mov_b32_e32 v54, v100
	;; [unrolled: 6-line block ×4, first 2 shown]
	v_mul_f32_e32 v103, 0x3e903f40, v76
	v_add_f32_e32 v1, v3, v1
	v_add_f32_e32 v3, v18, v16
	v_fmac_f32_e32 v53, 0xbe11bafb, v72
	v_mov_b32_e32 v55, v103
	v_add_f32_e32 v3, v20, v3
	v_add_f32_e32 v53, v16, v53
	v_fmac_f32_e32 v55, 0xbf75a155, v75
	v_mul_f32_e32 v104, 0x3f68dda4, v79
	v_add_f32_e32 v3, v22, v3
	v_add_f32_e32 v53, v55, v53
	v_mov_b32_e32 v55, v104
	v_add_f32_e32 v3, v24, v3
	v_fmac_f32_e32 v55, 0x3ed4b147, v78
	v_mul_f32_e32 v105, 0xbf0a6770, v82
	v_add_f32_e32 v3, v26, v3
	v_add_f32_e32 v53, v55, v53
	v_mov_b32_e32 v55, v105
	;; [unrolled: 6-line block ×3, first 2 shown]
	v_add_f32_e32 v0, v0, v3
	v_fmac_f32_e32 v59, 0xbe903f40, v60
	v_fmac_f32_e32 v55, 0xbf27a4f4, v84
	v_mul_f32_e32 v107, 0x3ed4b147, v57
	v_add_f32_e32 v0, v2, v0
	v_add_f32_e32 v2, v17, v59
	v_fmac_f32_e32 v61, 0x3f0a6770, v62
	v_add_f32_e32 v53, v55, v53
	v_mov_b32_e32 v55, v107
	v_mul_f32_e32 v108, 0xbf27a4f4, v58
	v_add_f32_e32 v2, v61, v2
	v_fmac_f32_e32 v64, 0xbf4178ce, v65
	v_fmac_f32_e32 v55, 0x3f68dda4, v60
	v_mov_b32_e32 v56, v108
	v_add_f32_e32 v2, v64, v2
	v_fmac_f32_e32 v67, 0x3f68dda4, v68
	s_mov_b32 s2, 0xbf75a155
	v_add_f32_e32 v55, v17, v55
	v_fmac_f32_e32 v56, 0x3f4178ce, v62
	v_mul_f32_e32 v109, 0xbf75a155, v63
	v_add_f32_e32 v2, v67, v2
	v_fmac_f32_e32 v70, 0xbf7d64f0, v71
	s_mov_b32 s3, 0x3f575c64
	v_add_f32_e32 v55, v56, v55
	v_mov_b32_e32 v56, v109
	v_add_f32_e32 v3, v70, v2
	v_fma_f32 v2, v72, s2, -v74
	s_mov_b32 s8, 0xbf27a4f4
	v_fmac_f32_e32 v56, 0xbe903f40, v65
	v_mul_f32_e32 v110, 0xbe11bafb, v66
	v_add_f32_e32 v2, v16, v2
	v_fma_f32 v4, v75, s3, -v77
	s_mov_b32 s9, 0x3ed4b147
	v_add_f32_e32 v55, v56, v55
	v_mov_b32_e32 v56, v110
	v_add_f32_e32 v2, v4, v2
	v_fma_f32 v4, v78, s8, -v80
	s_mov_b32 s10, 0xbe11bafb
	v_fmac_f32_e32 v56, 0xbf7d64f0, v68
	v_mul_f32_e32 v111, 0x3f575c64, v69
	v_add_f32_e32 v2, v4, v2
	v_fma_f32 v4, v81, s9, -v83
	v_add_f32_e32 v55, v56, v55
	v_mov_b32_e32 v56, v111
	v_add_f32_e32 v2, v4, v2
	v_fma_f32 v4, v84, s10, -v86
	v_fmac_f32_e32 v87, 0xbf4178ce, v60
	v_fmac_f32_e32 v56, 0xbf0a6770, v71
	v_mul_f32_e32 v112, 0xbf68dda4, v73
	v_add_f32_e32 v2, v4, v2
	v_add_f32_e32 v4, v17, v87
	v_fmac_f32_e32 v88, 0x3f7d64f0, v62
	v_add_f32_e32 v56, v56, v55
	v_mov_b32_e32 v55, v112
	v_mul_f32_e32 v113, 0xbf4178ce, v76
	v_add_f32_e32 v4, v88, v4
	v_fmac_f32_e32 v89, 0xbf0a6770, v65
	v_fmac_f32_e32 v55, 0x3ed4b147, v72
	v_mov_b32_e32 v114, v113
	v_add_f32_e32 v4, v89, v4
	v_fmac_f32_e32 v90, 0xbe903f40, v68
	v_add_f32_e32 v55, v16, v55
	v_fmac_f32_e32 v114, 0xbf27a4f4, v75
	v_add_f32_e32 v4, v90, v4
	v_fmac_f32_e32 v91, 0x3f68dda4, v71
	v_add_f32_e32 v55, v114, v55
	v_mul_f32_e32 v114, 0x3e903f40, v79
	v_add_f32_e32 v5, v91, v4
	v_fma_f32 v4, v72, s8, -v92
	v_mov_b32_e32 v115, v114
	v_add_f32_e32 v4, v16, v4
	v_fma_f32 v6, v75, s10, -v93
	v_fmac_f32_e32 v115, 0xbf75a155, v78
	v_add_f32_e32 v4, v6, v4
	v_fma_f32 v6, v78, s3, -v94
	v_add_f32_e32 v55, v115, v55
	v_mul_f32_e32 v115, 0x3f7d64f0, v82
	v_add_f32_e32 v4, v6, v4
	v_fma_f32 v6, v81, s2, -v95
	v_mov_b32_e32 v116, v115
	v_add_f32_e32 v4, v6, v4
	v_fma_f32 v6, v84, s9, -v96
	v_fmac_f32_e32 v97, 0xbf7d64f0, v60
	v_fmac_f32_e32 v116, 0xbe11bafb, v81
	v_add_f32_e32 v4, v6, v4
	v_add_f32_e32 v6, v17, v97
	v_fmac_f32_e32 v98, 0x3e903f40, v62
	v_add_f32_e32 v55, v116, v55
	v_mul_f32_e32 v116, 0x3f0a6770, v85
	v_add_f32_e32 v6, v98, v6
	v_fmac_f32_e32 v99, 0x3f68dda4, v65
	v_mov_b32_e32 v117, v116
	v_add_f32_e32 v6, v99, v6
	v_fmac_f32_e32 v100, 0xbf0a6770, v68
	v_fmac_f32_e32 v117, 0x3f575c64, v84
	v_add_f32_e32 v6, v100, v6
	v_fmac_f32_e32 v101, 0xbf4178ce, v71
	v_add_f32_e32 v55, v117, v55
	v_mul_f32_e32 v117, 0x3f575c64, v57
	v_add_f32_e32 v7, v101, v6
	v_fma_f32 v6, v72, s10, -v102
	v_mov_b32_e32 v57, v117
	v_mul_f32_e32 v118, 0x3ed4b147, v58
	v_add_f32_e32 v6, v16, v6
	v_fma_f32 v18, v75, s2, -v103
	v_fmac_f32_e32 v57, 0x3f0a6770, v60
	v_mov_b32_e32 v58, v118
	v_add_f32_e32 v6, v18, v6
	v_fma_f32 v18, v78, s9, -v104
	v_add_f32_e32 v57, v17, v57
	v_fmac_f32_e32 v58, 0x3f68dda4, v62
	v_mul_f32_e32 v63, 0xbe11bafb, v63
	v_add_f32_e32 v6, v18, v6
	v_fma_f32 v18, v81, s3, -v105
	v_add_f32_e32 v57, v58, v57
	v_mov_b32_e32 v58, v63
	v_add_f32_e32 v6, v18, v6
	v_fma_f32 v18, v84, s8, -v106
	v_fmac_f32_e32 v107, 0xbf68dda4, v60
	v_fmac_f32_e32 v58, 0x3f7d64f0, v65
	v_mul_f32_e32 v66, 0xbf27a4f4, v66
	v_add_f32_e32 v6, v18, v6
	v_add_f32_e32 v18, v17, v107
	v_fmac_f32_e32 v108, 0xbf4178ce, v62
	v_add_f32_e32 v57, v58, v57
	v_mov_b32_e32 v58, v66
	v_add_f32_e32 v18, v108, v18
	v_fmac_f32_e32 v109, 0x3e903f40, v65
	v_fmac_f32_e32 v58, 0x3f4178ce, v68
	v_mul_f32_e32 v69, 0xbf75a155, v69
	v_add_f32_e32 v18, v109, v18
	v_fmac_f32_e32 v110, 0x3f7d64f0, v68
	v_add_f32_e32 v57, v58, v57
	v_mov_b32_e32 v58, v69
	v_add_f32_e32 v18, v110, v18
	v_fmac_f32_e32 v111, 0x3f0a6770, v71
	v_fmac_f32_e32 v58, 0x3e903f40, v71
	v_mul_f32_e32 v73, 0xbf0a6770, v73
	v_add_f32_e32 v19, v111, v18
	v_fma_f32 v18, v72, s9, -v112
	v_add_f32_e32 v58, v58, v57
	v_mov_b32_e32 v57, v73
	v_mul_f32_e32 v76, 0xbf68dda4, v76
	v_add_f32_e32 v18, v16, v18
	v_fma_f32 v20, v75, s8, -v113
	v_fmac_f32_e32 v57, 0x3f575c64, v72
	v_mov_b32_e32 v119, v76
	v_add_f32_e32 v18, v20, v18
	v_fma_f32 v20, v78, s2, -v114
	v_add_f32_e32 v57, v16, v57
	v_fmac_f32_e32 v119, 0x3ed4b147, v75
	v_mul_f32_e32 v79, 0xbf7d64f0, v79
	v_add_f32_e32 v18, v20, v18
	v_fma_f32 v20, v81, s10, -v115
	v_add_f32_e32 v57, v119, v57
	v_mov_b32_e32 v119, v79
	v_add_f32_e32 v18, v20, v18
	v_fma_f32 v20, v84, s3, -v116
	v_fmac_f32_e32 v119, 0xbe11bafb, v78
	v_mul_f32_e32 v82, 0xbf4178ce, v82
	v_add_f32_e32 v18, v20, v18
	v_fma_f32 v20, v72, s3, -v73
	v_add_f32_e32 v57, v119, v57
	v_mov_b32_e32 v119, v82
	v_fmac_f32_e32 v117, 0xbf0a6770, v60
	v_add_f32_e32 v16, v16, v20
	v_fma_f32 v20, v75, s9, -v76
	v_fmac_f32_e32 v119, 0xbf27a4f4, v81
	v_mul_f32_e32 v85, 0xbe903f40, v85
	v_add_f32_e32 v17, v17, v117
	v_fmac_f32_e32 v118, 0xbf68dda4, v62
	v_add_f32_e32 v16, v20, v16
	v_fma_f32 v20, v78, s10, -v79
	v_add_f32_e32 v57, v119, v57
	v_mov_b32_e32 v119, v85
	v_add_f32_e32 v17, v118, v17
	v_fmac_f32_e32 v63, 0xbf7d64f0, v65
	v_add_f32_e32 v16, v20, v16
	v_fma_f32 v20, v81, s8, -v82
	v_fmac_f32_e32 v119, 0xbf75a155, v84
	v_add_f32_e32 v17, v63, v17
	v_fmac_f32_e32 v66, 0xbf4178ce, v68
	v_add_f32_e32 v16, v20, v16
	v_fma_f32 v20, v84, s2, -v85
	v_add_f32_e32 v57, v119, v57
	v_add_f32_e32 v1, v30, v1
	;; [unrolled: 1-line block ×4, first 2 shown]
	v_fmac_f32_e32 v69, 0xbe903f40, v71
	v_add_f32_e32 v16, v20, v16
	v_lshl_add_u32 v20, v44, 3, v43
	v_add_f32_e32 v17, v69, v17
	ds_write2_b64 v20, v[0:1], v[57:58] offset1:1
	ds_write2_b64 v20, v[55:56], v[53:54] offset0:2 offset1:3
	ds_write2_b64 v20, v[51:52], v[49:50] offset0:4 offset1:5
	;; [unrolled: 1-line block ×4, first 2 shown]
	ds_write_b64 v20, v[16:17] offset:80
.LBB0_13:
	s_or_b64 exec, exec, s[0:1]
	s_waitcnt lgkmcnt(0)
	s_barrier
	ds_read2_b64 v[0:3], v45 offset1:22
	ds_read2_b64 v[4:7], v45 offset0:44 offset1:66
	ds_read2_b64 v[16:19], v45 offset0:88 offset1:110
	s_waitcnt lgkmcnt(0)
	s_barrier
	v_mul_f32_e32 v20, v13, v3
	v_fmac_f32_e32 v20, v12, v2
	v_mul_f32_e32 v2, v13, v2
	v_fma_f32 v12, v12, v3, -v2
	v_mul_f32_e32 v2, v15, v5
	v_fmac_f32_e32 v2, v14, v4
	v_mul_f32_e32 v3, v15, v4
	v_mul_f32_e32 v4, v9, v7
	v_fma_f32 v3, v14, v5, -v3
	v_fmac_f32_e32 v4, v8, v6
	v_mul_f32_e32 v5, v9, v6
	v_mul_f32_e32 v6, v11, v17
	v_fmac_f32_e32 v6, v10, v16
	v_fma_f32 v5, v8, v7, -v5
	v_mul_f32_e32 v7, v11, v16
	v_add_f32_e32 v11, v2, v6
	v_fma_f32 v7, v10, v17, -v7
	v_fma_f32 v11, -0.5, v11, v0
	v_add_f32_e32 v10, v0, v2
	v_sub_f32_e32 v0, v3, v7
	v_mov_b32_e32 v13, v11
	v_fmac_f32_e32 v13, 0xbf5db3d7, v0
	v_fmac_f32_e32 v11, 0x3f5db3d7, v0
	v_add_f32_e32 v0, v1, v3
	v_add_f32_e32 v14, v0, v7
	;; [unrolled: 1-line block ×3, first 2 shown]
	v_fma_f32 v15, -0.5, v0, v1
	v_mul_f32_e32 v8, v32, v19
	v_sub_f32_e32 v0, v2, v6
	v_mov_b32_e32 v16, v15
	v_fmac_f32_e32 v8, v31, v18
	v_fmac_f32_e32 v16, 0x3f5db3d7, v0
	v_fmac_f32_e32 v15, 0xbf5db3d7, v0
	v_add_f32_e32 v0, v20, v4
	v_mul_f32_e32 v9, v32, v18
	v_add_f32_e32 v10, v10, v6
	v_add_f32_e32 v6, v0, v8
	v_add_f32_e32 v0, v4, v8
	v_fma_f32 v9, v31, v19, -v9
	v_fmac_f32_e32 v20, -0.5, v0
	v_sub_f32_e32 v0, v5, v9
	v_mov_b32_e32 v3, v20
	v_fmac_f32_e32 v3, 0xbf5db3d7, v0
	v_fmac_f32_e32 v20, 0x3f5db3d7, v0
	v_add_f32_e32 v0, v12, v5
	v_add_f32_e32 v7, v0, v9
	;; [unrolled: 1-line block ×3, first 2 shown]
	v_fmac_f32_e32 v12, -0.5, v0
	v_sub_f32_e32 v0, v4, v8
	v_mov_b32_e32 v5, v12
	v_fmac_f32_e32 v5, 0x3f5db3d7, v0
	v_fmac_f32_e32 v12, 0xbf5db3d7, v0
	v_mul_f32_e32 v8, 0xbf5db3d7, v5
	v_mul_f32_e32 v9, 0xbf5db3d7, v12
	v_mul_f32_e32 v17, 0.5, v5
	v_mul_f32_e32 v12, -0.5, v12
	v_fmac_f32_e32 v8, 0.5, v3
	v_fmac_f32_e32 v9, -0.5, v20
	v_fmac_f32_e32 v17, 0x3f5db3d7, v3
	v_fmac_f32_e32 v12, 0x3f5db3d7, v20
	v_add_f32_e32 v0, v10, v6
	v_add_f32_e32 v2, v13, v8
	v_add_f32_e32 v4, v11, v9
	v_add_f32_e32 v1, v14, v7
	v_add_f32_e32 v3, v16, v17
	v_add_f32_e32 v5, v15, v12
	v_sub_f32_e32 v6, v10, v6
	v_sub_f32_e32 v8, v13, v8
	;; [unrolled: 1-line block ×6, first 2 shown]
	ds_write2_b64 v47, v[0:1], v[2:3] offset1:11
	ds_write2_b64 v47, v[4:5], v[6:7] offset0:22 offset1:33
	ds_write2_b64 v47, v[8:9], v[10:11] offset0:44 offset1:55
	s_waitcnt lgkmcnt(0)
	s_barrier
	ds_read2_b64 v[0:3], v45 offset0:44 offset1:66
	ds_read2_b64 v[4:7], v45 offset1:22
	ds_read2_b64 v[8:11], v45 offset0:88 offset1:110
	s_waitcnt lgkmcnt(2)
	v_mul_f32_e32 v12, v34, v3
	v_fmac_f32_e32 v12, v33, v2
	v_mul_f32_e32 v2, v34, v2
	v_fma_f32 v3, v33, v3, -v2
	s_waitcnt lgkmcnt(0)
	v_mul_f32_e32 v13, v36, v9
	v_mul_f32_e32 v2, v36, v8
	v_fmac_f32_e32 v13, v35, v8
	v_fma_f32 v9, v35, v9, -v2
	v_mul_f32_e32 v14, v38, v11
	v_mul_f32_e32 v2, v38, v10
	v_fmac_f32_e32 v14, v37, v10
	v_fma_f32 v11, v37, v11, -v2
	v_sub_f32_e32 v2, v4, v12
	v_sub_f32_e32 v3, v5, v3
	;; [unrolled: 1-line block ×4, first 2 shown]
	v_fma_f32 v4, v4, 2.0, -v2
	v_fma_f32 v5, v5, 2.0, -v3
	;; [unrolled: 1-line block ×4, first 2 shown]
	v_sub_f32_e32 v10, v0, v14
	v_sub_f32_e32 v11, v1, v11
	v_fma_f32 v0, v0, 2.0, -v10
	v_fma_f32 v1, v1, 2.0, -v11
	ds_write2_b64 v46, v[4:5], v[6:7] offset1:22
	ds_write_b64 v46, v[8:9] offset:704
	ds_write2_b64 v46, v[0:1], v[2:3] offset0:44 offset1:66
	ds_write_b64 v48, v[10:11] offset:528
	s_waitcnt lgkmcnt(0)
	s_barrier
	s_and_b64 exec, exec, vcc
	s_cbranch_execz .LBB0_15
; %bb.14:
	global_load_dwordx2 v[8:9], v40, s[12:13]
	global_load_dwordx2 v[10:11], v40, s[12:13] offset:96
	global_load_dwordx2 v[12:13], v40, s[12:13] offset:192
	;; [unrolled: 1-line block ×4, first 2 shown]
	ds_read_b64 v[20:21], v46
	global_load_dwordx2 v[24:25], v40, s[12:13] offset:480
	global_load_dwordx2 v[26:27], v40, s[12:13] offset:576
	;; [unrolled: 1-line block ×3, first 2 shown]
	v_mad_u64_u32 v[18:19], s[0:1], s6, v28, 0
	v_mad_u64_u32 v[22:23], s[2:3], s4, v39, 0
	s_mul_i32 s3, s5, 0x60
	s_mul_hi_u32 s6, s4, 0x60
	s_add_i32 s3, s6, s3
	s_waitcnt lgkmcnt(0)
	v_mad_u64_u32 v[31:32], s[6:7], s7, v28, v[19:20]
	v_mov_b32_e32 v34, s15
	v_lshl_add_u32 v35, v42, 3, v40
	v_mov_b32_e32 v19, v31
	v_lshlrev_b64 v[18:19], 3, v[18:19]
	ds_read2_b64 v[0:3], v35 offset0:12 offset1:24
	v_add_co_u32_e32 v36, vcc, s14, v18
	v_addc_co_u32_e32 v34, vcc, v34, v19, vcc
	s_mul_i32 s2, s4, 0x60
	ds_read2_b64 v[4:7], v35 offset0:36 offset1:48
	v_mov_b32_e32 v28, s3
	s_mov_b32 s0, 0xf07c1f08
	s_mov_b32 s1, 0x3f7f07c1
	s_mul_i32 s8, s5, 0xc0
	s_waitcnt vmcnt(5) lgkmcnt(1)
	v_mul_f32_e32 v37, v3, v13
	v_mul_f32_e32 v13, v2, v13
	s_waitcnt vmcnt(2)
	v_mad_u64_u32 v[32:33], s[6:7], s5, v39, v[23:24]
	v_mov_b32_e32 v33, s3
	s_waitcnt lgkmcnt(0)
	v_mul_f32_e32 v38, v5, v15
	v_mov_b32_e32 v23, v32
	v_lshlrev_b64 v[22:23], 3, v[22:23]
	v_mul_f32_e32 v15, v4, v15
	v_add_co_u32_e32 v18, vcc, v36, v22
	v_addc_co_u32_e32 v19, vcc, v34, v23, vcc
	v_add_co_u32_e32 v22, vcc, s2, v18
	v_addc_co_u32_e32 v23, vcc, v19, v28, vcc
	v_add_co_u32_e32 v31, vcc, s2, v22
	v_mul_f32_e32 v28, v21, v9
	v_mul_f32_e32 v9, v20, v9
	v_addc_co_u32_e32 v32, vcc, v23, v33, vcc
	v_mul_f32_e32 v33, v1, v11
	v_mul_f32_e32 v11, v0, v11
	v_fmac_f32_e32 v28, v20, v8
	v_fma_f32 v8, v8, v21, -v9
	v_mul_f32_e32 v42, v7, v17
	v_mul_f32_e32 v17, v6, v17
	v_fmac_f32_e32 v33, v0, v10
	v_fma_f32 v9, v10, v1, -v11
	v_fmac_f32_e32 v37, v2, v12
	v_fma_f32 v10, v12, v3, -v13
	v_cvt_f64_f32_e32 v[0:1], v28
	v_cvt_f64_f32_e32 v[2:3], v8
	v_fmac_f32_e32 v38, v4, v14
	v_fma_f32 v14, v14, v5, -v15
	v_fmac_f32_e32 v42, v6, v16
	v_fma_f32 v43, v16, v7, -v17
	v_cvt_f64_f32_e32 v[4:5], v33
	v_cvt_f64_f32_e32 v[6:7], v9
	v_cvt_f64_f32_e32 v[8:9], v37
	v_cvt_f64_f32_e32 v[10:11], v10
	v_mul_f64 v[0:1], v[0:1], s[0:1]
	v_mul_f64 v[2:3], v[2:3], s[0:1]
	;; [unrolled: 1-line block ×6, first 2 shown]
	global_load_dwordx2 v[20:21], v40, s[12:13] offset:768
	v_cvt_f64_f32_e32 v[16:17], v42
	v_cvt_f32_f64_e32 v0, v[0:1]
	v_cvt_f32_f64_e32 v1, v[2:3]
	;; [unrolled: 1-line block ×6, first 2 shown]
	global_store_dwordx2 v[18:19], v[0:1], off
	global_store_dwordx2 v[22:23], v[2:3], off
	;; [unrolled: 1-line block ×3, first 2 shown]
	global_load_dwordx2 v[8:9], v40, s[12:13] offset:864
	v_mul_f64 v[2:3], v[16:17], s[0:1]
	global_load_dwordx2 v[16:17], v40, s[12:13] offset:960
	v_cvt_f64_f32_e32 v[12:13], v38
	v_cvt_f64_f32_e32 v[14:15], v14
	;; [unrolled: 1-line block ×3, first 2 shown]
	v_mov_b32_e32 v11, s3
	v_mul_f64 v[12:13], v[12:13], s[0:1]
	v_mul_f64 v[14:15], v[14:15], s[0:1]
	v_mul_f64 v[4:5], v[0:1], s[0:1]
	v_add_co_u32_e32 v10, vcc, s2, v31
	v_addc_co_u32_e32 v11, vcc, v32, v11, vcc
	v_mov_b32_e32 v22, 0xc0
	v_cvt_f32_f64_e32 v6, v[12:13]
	v_cvt_f32_f64_e32 v7, v[14:15]
	;; [unrolled: 1-line block ×3, first 2 shown]
	ds_read2_b64 v[0:3], v35 offset0:60 offset1:72
	v_cvt_f32_f64_e32 v13, v[4:5]
	global_store_dwordx2 v[10:11], v[6:7], off
	v_mad_u64_u32 v[6:7], s[6:7], s4, v41, 0
	v_or_b32_e32 v23, 0x60, v39
	v_mov_b32_e32 v4, v7
	v_mad_u64_u32 v[4:5], s[6:7], s5, v41, v[4:5]
	s_waitcnt lgkmcnt(0)
	v_mul_f32_e32 v5, v1, v25
	v_fmac_f32_e32 v5, v0, v24
	v_mul_f32_e32 v0, v0, v25
	v_fma_f32 v0, v24, v1, -v0
	v_cvt_f64_f32_e32 v[14:15], v5
	v_cvt_f64_f32_e32 v[0:1], v0
	v_mov_b32_e32 v7, v4
	v_lshlrev_b64 v[6:7], 3, v[6:7]
	v_mul_f64 v[4:5], v[14:15], s[0:1]
	v_mul_f64 v[0:1], v[0:1], s[0:1]
	v_add_co_u32_e32 v6, vcc, v36, v6
	v_addc_co_u32_e32 v7, vcc, v34, v7, vcc
	global_store_dwordx2 v[6:7], v[12:13], off
	v_mad_u64_u32 v[6:7], s[6:7], s4, v22, v[10:11]
	v_cvt_f32_f64_e32 v4, v[4:5]
	v_cvt_f32_f64_e32 v5, v[0:1]
	s_waitcnt vmcnt(9)
	v_mul_f32_e32 v0, v3, v27
	v_fmac_f32_e32 v0, v2, v26
	v_cvt_f64_f32_e32 v[10:11], v0
	v_mul_f32_e32 v0, v2, v27
	v_fma_f32 v0, v26, v3, -v0
	v_cvt_f64_f32_e32 v[12:13], v0
	ds_read2_b64 v[0:3], v35 offset0:84 offset1:96
	v_add_u32_e32 v7, s8, v7
	global_store_dwordx2 v[6:7], v[4:5], off
	v_mul_f64 v[4:5], v[10:11], s[0:1]
	v_mul_f64 v[10:11], v[12:13], s[0:1]
	s_waitcnt vmcnt(9) lgkmcnt(0)
	v_mul_f32_e32 v12, v1, v30
	v_fmac_f32_e32 v12, v0, v29
	v_cvt_f64_f32_e32 v[12:13], v12
	v_add_co_u32_e32 v6, vcc, s2, v6
	v_mul_f32_e32 v0, v0, v30
	v_cvt_f32_f64_e32 v4, v[4:5]
	v_cvt_f32_f64_e32 v5, v[10:11]
	v_mul_f64 v[10:11], v[12:13], s[0:1]
	v_mov_b32_e32 v12, s3
	v_addc_co_u32_e32 v7, vcc, v7, v12, vcc
	global_store_dwordx2 v[6:7], v[4:5], off
	v_mov_b32_e32 v4, s3
	v_add_co_u32_e32 v12, vcc, s2, v6
	v_addc_co_u32_e32 v13, vcc, v7, v4, vcc
	ds_read2_b64 v[4:7], v35 offset0:108 offset1:120
	v_fma_f32 v0, v29, v1, -v0
	v_cvt_f64_f32_e32 v[0:1], v0
	v_mad_u64_u32 v[14:15], s[6:7], s4, v23, 0
	s_waitcnt vmcnt(5) lgkmcnt(0)
	v_mul_f32_e32 v18, v5, v9
	v_fmac_f32_e32 v18, v4, v8
	v_mul_f32_e32 v4, v4, v9
	v_fma_f32 v4, v8, v5, -v4
	v_mul_f64 v[0:1], v[0:1], s[0:1]
	v_cvt_f64_f32_e32 v[4:5], v4
	v_cvt_f32_f64_e32 v10, v[10:11]
	v_mov_b32_e32 v8, v15
	v_mad_u64_u32 v[8:9], s[6:7], s5, v23, v[8:9]
	v_mul_f64 v[4:5], v[4:5], s[0:1]
	v_cvt_f64_f32_e32 v[18:19], v18
	v_cvt_f32_f64_e32 v11, v[0:1]
	v_mul_f32_e32 v0, v3, v21
	v_fmac_f32_e32 v0, v2, v20
	v_mul_f32_e32 v2, v2, v21
	v_fma_f32 v2, v20, v3, -v2
	v_cvt_f64_f32_e32 v[0:1], v0
	v_cvt_f64_f32_e32 v[2:3], v2
	v_cvt_f32_f64_e32 v9, v[4:5]
	s_waitcnt vmcnt(4)
	v_mul_f32_e32 v4, v7, v17
	v_fmac_f32_e32 v4, v6, v16
	v_mul_f32_e32 v6, v6, v17
	v_fma_f32 v6, v16, v7, -v6
	v_mul_f64 v[0:1], v[0:1], s[0:1]
	v_mul_f64 v[2:3], v[2:3], s[0:1]
	v_cvt_f64_f32_e32 v[4:5], v4
	v_cvt_f64_f32_e32 v[6:7], v6
	v_mul_f64 v[18:19], v[18:19], s[0:1]
	v_mov_b32_e32 v15, v8
	v_mul_f64 v[4:5], v[4:5], s[0:1]
	v_mul_f64 v[6:7], v[6:7], s[0:1]
	v_cvt_f32_f64_e32 v0, v[0:1]
	v_cvt_f32_f64_e32 v1, v[2:3]
	v_lshlrev_b64 v[2:3], 3, v[14:15]
	global_store_dwordx2 v[12:13], v[10:11], off
	v_mad_u64_u32 v[10:11], s[4:5], s4, v22, v[12:13]
	v_add_co_u32_e32 v2, vcc, v36, v2
	v_addc_co_u32_e32 v3, vcc, v34, v3, vcc
	v_cvt_f32_f64_e32 v8, v[18:19]
	global_store_dwordx2 v[2:3], v[0:1], off
	v_cvt_f32_f64_e32 v0, v[4:5]
	v_cvt_f32_f64_e32 v1, v[6:7]
	v_add_u32_e32 v11, s8, v11
	v_mov_b32_e32 v3, s3
	v_add_co_u32_e32 v2, vcc, s2, v10
	v_addc_co_u32_e32 v3, vcc, v11, v3, vcc
	global_store_dwordx2 v[10:11], v[8:9], off
	global_store_dwordx2 v[2:3], v[0:1], off
.LBB0_15:
	s_endpgm
	.section	.rodata,"a",@progbits
	.p2align	6, 0x0
	.amdhsa_kernel bluestein_single_fwd_len132_dim1_sp_op_CI_CI
		.amdhsa_group_segment_fixed_size 5280
		.amdhsa_private_segment_fixed_size 0
		.amdhsa_kernarg_size 104
		.amdhsa_user_sgpr_count 6
		.amdhsa_user_sgpr_private_segment_buffer 1
		.amdhsa_user_sgpr_dispatch_ptr 0
		.amdhsa_user_sgpr_queue_ptr 0
		.amdhsa_user_sgpr_kernarg_segment_ptr 1
		.amdhsa_user_sgpr_dispatch_id 0
		.amdhsa_user_sgpr_flat_scratch_init 0
		.amdhsa_user_sgpr_private_segment_size 0
		.amdhsa_uses_dynamic_stack 0
		.amdhsa_system_sgpr_private_segment_wavefront_offset 0
		.amdhsa_system_sgpr_workgroup_id_x 1
		.amdhsa_system_sgpr_workgroup_id_y 0
		.amdhsa_system_sgpr_workgroup_id_z 0
		.amdhsa_system_sgpr_workgroup_info 0
		.amdhsa_system_vgpr_workitem_id 0
		.amdhsa_next_free_vgpr 124
		.amdhsa_next_free_sgpr 16
		.amdhsa_reserve_vcc 1
		.amdhsa_reserve_flat_scratch 0
		.amdhsa_float_round_mode_32 0
		.amdhsa_float_round_mode_16_64 0
		.amdhsa_float_denorm_mode_32 3
		.amdhsa_float_denorm_mode_16_64 3
		.amdhsa_dx10_clamp 1
		.amdhsa_ieee_mode 1
		.amdhsa_fp16_overflow 0
		.amdhsa_exception_fp_ieee_invalid_op 0
		.amdhsa_exception_fp_denorm_src 0
		.amdhsa_exception_fp_ieee_div_zero 0
		.amdhsa_exception_fp_ieee_overflow 0
		.amdhsa_exception_fp_ieee_underflow 0
		.amdhsa_exception_fp_ieee_inexact 0
		.amdhsa_exception_int_div_zero 0
	.end_amdhsa_kernel
	.text
.Lfunc_end0:
	.size	bluestein_single_fwd_len132_dim1_sp_op_CI_CI, .Lfunc_end0-bluestein_single_fwd_len132_dim1_sp_op_CI_CI
                                        ; -- End function
	.section	.AMDGPU.csdata,"",@progbits
; Kernel info:
; codeLenInByte = 8552
; NumSgprs: 20
; NumVgprs: 124
; ScratchSize: 0
; MemoryBound: 0
; FloatMode: 240
; IeeeMode: 1
; LDSByteSize: 5280 bytes/workgroup (compile time only)
; SGPRBlocks: 2
; VGPRBlocks: 30
; NumSGPRsForWavesPerEU: 20
; NumVGPRsForWavesPerEU: 124
; Occupancy: 2
; WaveLimiterHint : 1
; COMPUTE_PGM_RSRC2:SCRATCH_EN: 0
; COMPUTE_PGM_RSRC2:USER_SGPR: 6
; COMPUTE_PGM_RSRC2:TRAP_HANDLER: 0
; COMPUTE_PGM_RSRC2:TGID_X_EN: 1
; COMPUTE_PGM_RSRC2:TGID_Y_EN: 0
; COMPUTE_PGM_RSRC2:TGID_Z_EN: 0
; COMPUTE_PGM_RSRC2:TIDIG_COMP_CNT: 0
	.type	__hip_cuid_b7010cbd0b127e7d,@object ; @__hip_cuid_b7010cbd0b127e7d
	.section	.bss,"aw",@nobits
	.globl	__hip_cuid_b7010cbd0b127e7d
__hip_cuid_b7010cbd0b127e7d:
	.byte	0                               ; 0x0
	.size	__hip_cuid_b7010cbd0b127e7d, 1

	.ident	"AMD clang version 19.0.0git (https://github.com/RadeonOpenCompute/llvm-project roc-6.4.0 25133 c7fe45cf4b819c5991fe208aaa96edf142730f1d)"
	.section	".note.GNU-stack","",@progbits
	.addrsig
	.addrsig_sym __hip_cuid_b7010cbd0b127e7d
	.amdgpu_metadata
---
amdhsa.kernels:
  - .args:
      - .actual_access:  read_only
        .address_space:  global
        .offset:         0
        .size:           8
        .value_kind:     global_buffer
      - .actual_access:  read_only
        .address_space:  global
        .offset:         8
        .size:           8
        .value_kind:     global_buffer
      - .actual_access:  read_only
        .address_space:  global
        .offset:         16
        .size:           8
        .value_kind:     global_buffer
      - .actual_access:  read_only
        .address_space:  global
        .offset:         24
        .size:           8
        .value_kind:     global_buffer
      - .actual_access:  read_only
        .address_space:  global
        .offset:         32
        .size:           8
        .value_kind:     global_buffer
      - .offset:         40
        .size:           8
        .value_kind:     by_value
      - .address_space:  global
        .offset:         48
        .size:           8
        .value_kind:     global_buffer
      - .address_space:  global
        .offset:         56
        .size:           8
        .value_kind:     global_buffer
      - .address_space:  global
        .offset:         64
        .size:           8
        .value_kind:     global_buffer
      - .address_space:  global
        .offset:         72
        .size:           8
        .value_kind:     global_buffer
      - .offset:         80
        .size:           4
        .value_kind:     by_value
      - .address_space:  global
        .offset:         88
        .size:           8
        .value_kind:     global_buffer
      - .address_space:  global
        .offset:         96
        .size:           8
        .value_kind:     global_buffer
    .group_segment_fixed_size: 5280
    .kernarg_segment_align: 8
    .kernarg_segment_size: 104
    .language:       OpenCL C
    .language_version:
      - 2
      - 0
    .max_flat_workgroup_size: 110
    .name:           bluestein_single_fwd_len132_dim1_sp_op_CI_CI
    .private_segment_fixed_size: 0
    .sgpr_count:     20
    .sgpr_spill_count: 0
    .symbol:         bluestein_single_fwd_len132_dim1_sp_op_CI_CI.kd
    .uniform_work_group_size: 1
    .uses_dynamic_stack: false
    .vgpr_count:     124
    .vgpr_spill_count: 0
    .wavefront_size: 64
amdhsa.target:   amdgcn-amd-amdhsa--gfx906
amdhsa.version:
  - 1
  - 2
...

	.end_amdgpu_metadata
